;; amdgpu-corpus repo=ROCm/rocFFT kind=compiled arch=gfx1201 opt=O3
	.text
	.amdgcn_target "amdgcn-amd-amdhsa--gfx1201"
	.amdhsa_code_object_version 6
	.protected	fft_rtc_back_len216_factors_6_4_3_3_wgs_252_tpt_18_dim2_sp_ip_CI_sbcc_twdbase8_2step_dirReg ; -- Begin function fft_rtc_back_len216_factors_6_4_3_3_wgs_252_tpt_18_dim2_sp_ip_CI_sbcc_twdbase8_2step_dirReg
	.globl	fft_rtc_back_len216_factors_6_4_3_3_wgs_252_tpt_18_dim2_sp_ip_CI_sbcc_twdbase8_2step_dirReg
	.p2align	8
	.type	fft_rtc_back_len216_factors_6_4_3_3_wgs_252_tpt_18_dim2_sp_ip_CI_sbcc_twdbase8_2step_dirReg,@function
fft_rtc_back_len216_factors_6_4_3_3_wgs_252_tpt_18_dim2_sp_ip_CI_sbcc_twdbase8_2step_dirReg: ; @fft_rtc_back_len216_factors_6_4_3_3_wgs_252_tpt_18_dim2_sp_ip_CI_sbcc_twdbase8_2step_dirReg
; %bb.0:
	s_load_b128 s[4:7], s[0:1], 0x10
	s_mov_b32 s9, 0
	s_mov_b32 s2, 0x49240800
	;; [unrolled: 1-line block ×4, first 2 shown]
	s_mov_b32 s17, -1
	s_add_nc_u64 s[2:3], s[8:9], s[2:3]
	s_delay_alu instid0(SALU_CYCLE_1) | instskip(NEXT) | instid1(SALU_CYCLE_1)
	s_add_co_i32 s3, s3, 0x12492460
	s_mul_u64 s[10:11], s[2:3], -14
	s_delay_alu instid0(SALU_CYCLE_1)
	s_mul_hi_u32 s8, s2, s10
	s_mul_i32 s15, s3, s10
	s_mul_hi_u32 s14, s3, s10
	s_mul_hi_u32 s16, s3, s11
	s_mul_i32 s10, s3, s11
	s_wait_kmcnt 0x0
	s_load_b64 s[12:13], s[4:5], 0x8
	s_mul_hi_u32 s5, s2, s11
	s_mul_i32 s4, s2, s11
	s_delay_alu instid0(SALU_CYCLE_1) | instskip(NEXT) | instid1(SALU_CYCLE_1)
	s_add_nc_u64 s[4:5], s[8:9], s[4:5]
	s_add_co_u32 s4, s4, s15
	s_add_co_ci_u32 s8, s5, s14
	s_add_co_ci_u32 s11, s16, 0
	s_delay_alu instid0(SALU_CYCLE_1) | instskip(NEXT) | instid1(SALU_CYCLE_1)
	s_add_nc_u64 s[4:5], s[8:9], s[10:11]
	v_add_co_u32 v1, s2, s2, s4
	s_delay_alu instid0(VALU_DEP_1) | instskip(SKIP_1) | instid1(VALU_DEP_1)
	s_cmp_lg_u32 s2, 0
	s_add_co_ci_u32 s10, s3, s5
	v_readfirstlane_b32 s11, v1
	s_wait_kmcnt 0x0
	s_add_nc_u64 s[2:3], s[12:13], -1
	s_wait_alu 0xfffe
	s_mul_hi_u32 s5, s2, s10
	s_mul_i32 s4, s2, s10
	s_mul_hi_u32 s8, s2, s11
	s_mul_hi_u32 s15, s3, s11
	s_mul_i32 s11, s3, s11
	s_wait_alu 0xfffe
	s_add_nc_u64 s[4:5], s[8:9], s[4:5]
	s_mul_hi_u32 s14, s3, s10
	s_wait_alu 0xfffe
	s_add_co_u32 s4, s4, s11
	s_add_co_ci_u32 s8, s5, s15
	s_mul_i32 s10, s3, s10
	s_add_co_ci_u32 s11, s14, 0
	s_delay_alu instid0(SALU_CYCLE_1) | instskip(SKIP_2) | instid1(SALU_CYCLE_1)
	s_add_nc_u64 s[4:5], s[8:9], s[10:11]
	s_wait_alu 0xfffe
	s_mul_u64 s[10:11], s[4:5], 14
	v_sub_co_u32 v1, s2, s2, s10
	s_delay_alu instid0(VALU_DEP_1) | instskip(SKIP_1) | instid1(VALU_DEP_1)
	s_cmp_lg_u32 s2, 0
	s_sub_co_ci_u32 s14, s3, s11
	v_sub_co_u32 v2, s8, v1, 14
	s_delay_alu instid0(VALU_DEP_1) | instskip(SKIP_2) | instid1(VALU_DEP_1)
	s_cmp_lg_u32 s8, 0
	s_add_nc_u64 s[10:11], s[4:5], 2
	s_sub_co_ci_u32 s8, s14, 0
	v_readfirstlane_b32 s2, v2
	s_delay_alu instid0(VALU_DEP_1)
	s_cmp_gt_u32 s2, 13
	s_add_nc_u64 s[2:3], s[4:5], 1
	s_cselect_b32 s15, -1, 0
	s_cmp_eq_u32 s8, 0
	s_cselect_b32 s8, s15, -1
	v_readfirstlane_b32 s15, v1
	s_cmp_lg_u32 s8, 0
	s_wait_alu 0xfffe
	s_cselect_b32 s8, s10, s2
	s_cselect_b32 s10, s11, s3
	s_cmp_gt_u32 s15, 13
	s_cselect_b32 s2, -1, 0
	s_cmp_eq_u32 s14, 0
	s_mov_b64 s[14:15], 0
	s_wait_alu 0xfffe
	s_cselect_b32 s11, s2, -1
	s_load_b64 s[2:3], s[6:7], 0x0
	s_cmp_lg_u32 s11, 0
	s_cselect_b32 s5, s10, s5
	s_cselect_b32 s4, s8, s4
	s_mov_b32 s8, ttmp9
	s_wait_alu 0xfffe
	s_add_nc_u64 s[10:11], s[4:5], 1
	s_wait_alu 0xfffe
	v_cmp_lt_u64_e64 s4, s[8:9], s[10:11]
	s_delay_alu instid0(VALU_DEP_1)
	s_and_b32 vcc_lo, exec_lo, s4
	s_cbranch_vccnz .LBB0_2
; %bb.1:
	v_cvt_f32_u32_e32 v1, s10
	s_sub_co_i32 s5, 0, s10
	s_delay_alu instid0(VALU_DEP_1) | instskip(NEXT) | instid1(TRANS32_DEP_1)
	v_rcp_iflag_f32_e32 v1, v1
	v_mul_f32_e32 v1, 0x4f7ffffe, v1
	s_delay_alu instid0(VALU_DEP_1) | instskip(NEXT) | instid1(VALU_DEP_1)
	v_cvt_u32_f32_e32 v1, v1
	v_readfirstlane_b32 s4, v1
	s_wait_alu 0xfffe
	s_delay_alu instid0(VALU_DEP_1)
	s_mul_i32 s5, s5, s4
	s_wait_alu 0xfffe
	s_mul_hi_u32 s5, s4, s5
	s_wait_alu 0xfffe
	s_add_co_i32 s4, s4, s5
	s_wait_alu 0xfffe
	s_mul_hi_u32 s4, s8, s4
	s_wait_alu 0xfffe
	s_mul_i32 s5, s4, s10
	s_add_co_i32 s14, s4, 1
	s_wait_alu 0xfffe
	s_sub_co_i32 s5, s8, s5
	s_wait_alu 0xfffe
	s_sub_co_i32 s15, s5, s10
	s_cmp_ge_u32 s5, s10
	s_cselect_b32 s4, s14, s4
	s_cselect_b32 s5, s15, s5
	s_wait_alu 0xfffe
	s_add_co_i32 s14, s4, 1
	s_cmp_ge_u32 s5, s10
	s_mov_b32 s15, s9
	s_cselect_b32 s14, s14, s4
.LBB0_2:
	v_mul_u32_u24_e32 v1, 0x124a, v0
	s_load_b128 s[4:7], s[6:7], 0x8
	s_mul_u64 s[10:11], s[14:15], s[10:11]
	s_wait_alu 0xfffe
	s_sub_nc_u64 s[18:19], s[8:9], s[10:11]
	v_lshrrev_b32_e32 v31, 16, v1
	s_clause 0x1
	s_load_b64 s[10:11], s[0:1], 0x0
	s_load_b64 s[8:9], s[0:1], 0x50
	s_mul_u64 s[18:19], s[18:19], 14
	s_delay_alu instid0(SALU_CYCLE_1) | instskip(SKIP_3) | instid1(VALU_DEP_3)
	s_add_nc_u64 s[20:21], s[18:19], 14
	v_mul_lo_u16 v1, v31, 14
	v_cmp_gt_u64_e64 s22, s[20:21], s[12:13]
	v_cmp_le_u64_e64 s16, s[20:21], s[12:13]
	v_sub_nc_u16 v1, v0, v1
	s_delay_alu instid0(VALU_DEP_3) | instskip(NEXT) | instid1(VALU_DEP_1)
	s_and_b32 vcc_lo, exec_lo, s22
	v_and_b32_e32 v28, 0xffff, v1
	s_wait_kmcnt 0x0
	s_mul_u64 s[6:7], s[6:7], s[14:15]
	s_mul_u64 s[20:21], s[18:19], s[4:5]
	s_wait_alu 0xfffe
	s_add_nc_u64 s[6:7], s[6:7], s[20:21]
	v_add_co_u32 v1, s14, s18, v28
	s_delay_alu instid0(VALU_DEP_1)
	v_add_co_ci_u32_e64 v2, null, s19, 0, s14
	s_cbranch_vccz .LBB0_8
; %bb.3:
	s_mov_b32 s14, exec_lo
                                        ; implicit-def: $vgpr30
                                        ; implicit-def: $vgpr29
                                        ; implicit-def: $vgpr27
	s_delay_alu instid0(VALU_DEP_1)
	v_cmpx_le_u64_e64 s[12:13], v[1:2]
	s_wait_alu 0xfffe
	s_xor_b32 s14, exec_lo, s14
; %bb.4:
	v_add_nc_u32_e32 v30, 18, v31
	v_add_nc_u32_e32 v29, 54, v31
	;; [unrolled: 1-line block ×3, first 2 shown]
; %bb.5:
	s_wait_alu 0xfffe
	s_or_saveexec_b32 s14, s14
                                        ; implicit-def: $vgpr7
                                        ; implicit-def: $vgpr13
                                        ; implicit-def: $vgpr15
                                        ; implicit-def: $vgpr19
                                        ; implicit-def: $vgpr17
                                        ; implicit-def: $vgpr21
                                        ; implicit-def: $vgpr11
                                        ; implicit-def: $vgpr23
                                        ; implicit-def: $vgpr25
                                        ; implicit-def: $vgpr9
                                        ; implicit-def: $vgpr5
                                        ; implicit-def: $vgpr3
	s_wait_alu 0xfffe
	s_xor_b32 exec_lo, exec_lo, s14
	s_cbranch_execz .LBB0_7
; %bb.6:
	v_mad_co_u64_u32 v[3:4], null, s4, v28, 0
	v_mad_co_u64_u32 v[5:6], null, s2, v31, 0
	v_add_nc_u32_e32 v17, 0x6c, v31
	s_lshl_b64 s[18:19], s[6:7], 3
	v_add_nc_u32_e32 v29, 54, v31
	s_wait_alu 0xfffe
	s_add_nc_u64 s[18:19], s[8:9], s[18:19]
	v_add_nc_u32_e32 v37, 0xa2, v31
	v_add_nc_u32_e32 v20, 0xb4, v31
	v_mad_co_u64_u32 v[7:8], null, s5, v28, v[4:5]
	v_add_nc_u32_e32 v27, 36, v31
	v_add_nc_u32_e32 v30, 18, v31
	;; [unrolled: 1-line block ×5, first 2 shown]
	v_mov_b32_e32 v4, v7
	v_mad_co_u64_u32 v[12:13], null, s3, v31, v[6:7]
	v_add_nc_u32_e32 v15, 0x48, v31
	v_mad_co_u64_u32 v[8:9], null, s2, v27, 0
	s_delay_alu instid0(VALU_DEP_4)
	v_lshlrev_b64_e32 v[3:4], 3, v[3:4]
	v_mad_co_u64_u32 v[13:14], null, s2, v17, 0
	v_mov_b32_e32 v6, v12
	v_mad_co_u64_u32 v[10:11], null, s2, v15, 0
	v_mov_b32_e32 v7, v9
	s_wait_alu 0xfffe
	v_add_co_u32 v39, vcc_lo, s18, v3
	v_lshlrev_b64_e32 v[5:6], 3, v[5:6]
	v_add_co_ci_u32_e32 v40, vcc_lo, s19, v4, vcc_lo
	v_mov_b32_e32 v9, v11
	v_mad_co_u64_u32 v[18:19], null, s2, v30, 0
	s_delay_alu instid0(VALU_DEP_4) | instskip(NEXT) | instid1(VALU_DEP_3)
	v_add_co_u32 v3, vcc_lo, v39, v5
	v_mad_co_u64_u32 v[15:16], null, s3, v15, v[9:10]
	v_add_nc_u32_e32 v16, 0x90, v31
	v_mad_co_u64_u32 v[11:12], null, s3, v27, v[7:8]
	s_wait_alu 0xfffd
	v_add_co_ci_u32_e32 v4, vcc_lo, v40, v6, vcc_lo
	v_mov_b32_e32 v5, v14
	s_delay_alu instid0(VALU_DEP_3) | instskip(SKIP_1) | instid1(VALU_DEP_2)
	v_mov_b32_e32 v9, v11
	v_mov_b32_e32 v11, v15
	v_lshlrev_b64_e32 v[6:7], 3, v[8:9]
	s_delay_alu instid0(VALU_DEP_1) | instskip(NEXT) | instid1(VALU_DEP_3)
	v_mad_co_u64_u32 v[8:9], null, s3, v17, v[5:6]
	v_lshlrev_b64_e32 v[9:10], 3, v[10:11]
	v_mad_co_u64_u32 v[11:12], null, s2, v16, 0
	v_add_co_u32 v5, vcc_lo, v39, v6
	s_wait_alu 0xfffd
	v_add_co_ci_u32_e32 v6, vcc_lo, v40, v7, vcc_lo
	v_mov_b32_e32 v14, v8
	v_add_co_u32 v7, vcc_lo, v39, v9
	v_mov_b32_e32 v9, v12
	s_wait_alu 0xfffd
	v_add_co_ci_u32_e32 v8, vcc_lo, v40, v10, vcc_lo
	v_lshlrev_b64_e32 v[12:13], 3, v[13:14]
	v_mad_co_u64_u32 v[14:15], null, s2, v20, 0
	v_mad_co_u64_u32 v[9:10], null, s3, v16, v[9:10]
	s_delay_alu instid0(VALU_DEP_3) | instskip(SKIP_1) | instid1(VALU_DEP_4)
	v_add_co_u32 v16, vcc_lo, v39, v12
	s_wait_alu 0xfffd
	v_add_co_ci_u32_e32 v17, vcc_lo, v40, v13, vcc_lo
	s_delay_alu instid0(VALU_DEP_4) | instskip(NEXT) | instid1(VALU_DEP_4)
	v_dual_mov_b32 v10, v15 :: v_dual_mov_b32 v13, v19
	v_mov_b32_e32 v12, v9
	s_delay_alu instid0(VALU_DEP_2)
	v_mad_co_u64_u32 v[20:21], null, s3, v20, v[10:11]
	s_clause 0x3
	global_load_b64 v[3:4], v[3:4], off
	global_load_b64 v[5:6], v[5:6], off
	;; [unrolled: 1-line block ×4, first 2 shown]
	v_mad_co_u64_u32 v[16:17], null, s3, v30, v[13:14]
	v_lshlrev_b64_e32 v[11:12], 3, v[11:12]
	v_mov_b32_e32 v15, v20
	v_mad_co_u64_u32 v[20:21], null, s2, v29, 0
	s_delay_alu instid0(VALU_DEP_4) | instskip(SKIP_1) | instid1(VALU_DEP_4)
	v_mov_b32_e32 v19, v16
	v_mad_co_u64_u32 v[16:17], null, s2, v24, 0
	v_lshlrev_b64_e32 v[13:14], 3, v[14:15]
	v_add_co_u32 v11, vcc_lo, v39, v11
	v_mov_b32_e32 v15, v21
	s_wait_alu 0xfffd
	v_add_co_ci_u32_e32 v12, vcc_lo, v40, v12, vcc_lo
	s_delay_alu instid0(VALU_DEP_4) | instskip(NEXT) | instid1(VALU_DEP_3)
	v_add_co_u32 v13, vcc_lo, v39, v13
	v_mad_co_u64_u32 v[21:22], null, s3, v29, v[15:16]
	v_mad_co_u64_u32 v[22:23], null, s2, v32, 0
	v_mov_b32_e32 v15, v17
	v_lshlrev_b64_e32 v[17:18], 3, v[18:19]
	s_wait_alu 0xfffd
	v_add_co_ci_u32_e32 v14, vcc_lo, v40, v14, vcc_lo
	s_delay_alu instid0(VALU_DEP_3) | instskip(SKIP_3) | instid1(VALU_DEP_3)
	v_mad_co_u64_u32 v[24:25], null, s3, v24, v[15:16]
	v_mov_b32_e32 v15, v23
	v_mad_co_u64_u32 v[25:26], null, s2, v37, 0
	v_add_co_u32 v35, vcc_lo, v39, v17
	v_mad_co_u64_u32 v[32:33], null, s3, v32, v[15:16]
	v_mad_co_u64_u32 v[33:34], null, s2, v38, 0
	s_delay_alu instid0(VALU_DEP_4)
	v_mov_b32_e32 v15, v26
	v_mov_b32_e32 v17, v24
	s_wait_alu 0xfffd
	v_add_co_ci_u32_e32 v36, vcc_lo, v40, v18, vcc_lo
	v_lshlrev_b64_e32 v[18:19], 3, v[20:21]
	v_mad_co_u64_u32 v[20:21], null, s3, v37, v[15:16]
	v_lshlrev_b64_e32 v[16:17], 3, v[16:17]
	v_mov_b32_e32 v15, v34
	v_mov_b32_e32 v23, v32
	v_add_co_u32 v18, vcc_lo, v39, v18
	s_wait_alu 0xfffd
	v_add_co_ci_u32_e32 v19, vcc_lo, v40, v19, vcc_lo
	v_mad_co_u64_u32 v[37:38], null, s3, v38, v[15:16]
	v_mov_b32_e32 v26, v20
	v_lshlrev_b64_e32 v[21:22], 3, v[22:23]
	v_add_co_u32 v15, vcc_lo, v39, v16
	s_wait_alu 0xfffd
	v_add_co_ci_u32_e32 v16, vcc_lo, v40, v17, vcc_lo
	v_mov_b32_e32 v34, v37
	v_lshlrev_b64_e32 v[23:24], 3, v[25:26]
	v_add_co_u32 v37, vcc_lo, v39, v21
	s_wait_alu 0xfffd
	v_add_co_ci_u32_e32 v38, vcc_lo, v40, v22, vcc_lo
	v_lshlrev_b64_e32 v[20:21], 3, v[33:34]
	s_delay_alu instid0(VALU_DEP_4) | instskip(SKIP_2) | instid1(VALU_DEP_3)
	v_add_co_u32 v32, vcc_lo, v39, v23
	s_wait_alu 0xfffd
	v_add_co_ci_u32_e32 v33, vcc_lo, v40, v24, vcc_lo
	v_add_co_u32 v39, vcc_lo, v39, v20
	s_wait_alu 0xfffd
	v_add_co_ci_u32_e32 v40, vcc_lo, v40, v21, vcc_lo
	s_clause 0x7
	global_load_b64 v[25:26], v[11:12], off
	global_load_b64 v[23:24], v[13:14], off
	;; [unrolled: 1-line block ×8, first 2 shown]
.LBB0_7:
	s_or_b32 exec_lo, exec_lo, s14
	s_cbranch_execz .LBB0_9
	s_branch .LBB0_10
.LBB0_8:
                                        ; implicit-def: $vgpr7
                                        ; implicit-def: $vgpr13
                                        ; implicit-def: $vgpr15
                                        ; implicit-def: $vgpr19
                                        ; implicit-def: $vgpr17
                                        ; implicit-def: $vgpr21
                                        ; implicit-def: $vgpr11
                                        ; implicit-def: $vgpr23
                                        ; implicit-def: $vgpr25
                                        ; implicit-def: $vgpr9
                                        ; implicit-def: $vgpr5
                                        ; implicit-def: $vgpr3
                                        ; implicit-def: $vgpr30
                                        ; implicit-def: $vgpr29
                                        ; implicit-def: $vgpr27
	s_and_not1_b32 vcc_lo, exec_lo, s17
	s_cbranch_vccnz .LBB0_10
.LBB0_9:
	s_wait_loadcnt 0xb
	v_mad_co_u64_u32 v[3:4], null, s4, v28, 0
	s_wait_loadcnt 0xa
	v_mad_co_u64_u32 v[5:6], null, s2, v31, 0
	s_wait_loadcnt 0x2
	v_add_nc_u32_e32 v17, 0x6c, v31
	s_lshl_b64 s[14:15], s[6:7], 3
	v_add_nc_u32_e32 v29, 54, v31
	s_wait_alu 0xfffe
	s_add_nc_u64 s[14:15], s[8:9], s[14:15]
	v_add_nc_u32_e32 v37, 0xa2, v31
	s_wait_loadcnt 0x1
	v_add_nc_u32_e32 v20, 0xb4, v31
	v_mad_co_u64_u32 v[7:8], null, s5, v28, v[4:5]
	v_add_nc_u32_e32 v27, 36, v31
	v_add_nc_u32_e32 v30, 18, v31
	;; [unrolled: 1-line block ×5, first 2 shown]
	v_mov_b32_e32 v4, v7
	v_mad_co_u64_u32 v[12:13], null, s3, v31, v[6:7]
	s_wait_loadcnt 0x0
	v_add_nc_u32_e32 v15, 0x48, v31
	v_mad_co_u64_u32 v[8:9], null, s2, v27, 0
	v_lshlrev_b64_e32 v[3:4], 3, v[3:4]
	v_mad_co_u64_u32 v[13:14], null, s2, v17, 0
	v_mov_b32_e32 v6, v12
	v_mad_co_u64_u32 v[10:11], null, s2, v15, 0
	v_mov_b32_e32 v7, v9
	s_wait_alu 0xfffe
	v_add_co_u32 v39, vcc_lo, s14, v3
	v_lshlrev_b64_e32 v[5:6], 3, v[5:6]
	s_wait_alu 0xfffd
	v_add_co_ci_u32_e32 v40, vcc_lo, s15, v4, vcc_lo
	v_mov_b32_e32 v9, v11
	v_mad_co_u64_u32 v[18:19], null, s2, v30, 0
	s_delay_alu instid0(VALU_DEP_4) | instskip(NEXT) | instid1(VALU_DEP_3)
	v_add_co_u32 v3, vcc_lo, v39, v5
	v_mad_co_u64_u32 v[15:16], null, s3, v15, v[9:10]
	v_add_nc_u32_e32 v16, 0x90, v31
	v_mad_co_u64_u32 v[11:12], null, s3, v27, v[7:8]
	s_wait_alu 0xfffd
	v_add_co_ci_u32_e32 v4, vcc_lo, v40, v6, vcc_lo
	v_mov_b32_e32 v5, v14
	s_delay_alu instid0(VALU_DEP_3) | instskip(SKIP_1) | instid1(VALU_DEP_2)
	v_mov_b32_e32 v9, v11
	v_mov_b32_e32 v11, v15
	v_lshlrev_b64_e32 v[6:7], 3, v[8:9]
	s_delay_alu instid0(VALU_DEP_1) | instskip(NEXT) | instid1(VALU_DEP_3)
	v_mad_co_u64_u32 v[8:9], null, s3, v17, v[5:6]
	v_lshlrev_b64_e32 v[9:10], 3, v[10:11]
	v_mad_co_u64_u32 v[11:12], null, s2, v16, 0
	v_add_co_u32 v5, vcc_lo, v39, v6
	s_wait_alu 0xfffd
	v_add_co_ci_u32_e32 v6, vcc_lo, v40, v7, vcc_lo
	v_mov_b32_e32 v14, v8
	v_add_co_u32 v7, vcc_lo, v39, v9
	v_mov_b32_e32 v9, v12
	s_wait_alu 0xfffd
	v_add_co_ci_u32_e32 v8, vcc_lo, v40, v10, vcc_lo
	v_lshlrev_b64_e32 v[12:13], 3, v[13:14]
	v_mad_co_u64_u32 v[14:15], null, s2, v20, 0
	v_mad_co_u64_u32 v[9:10], null, s3, v16, v[9:10]
	s_delay_alu instid0(VALU_DEP_3) | instskip(SKIP_1) | instid1(VALU_DEP_4)
	v_add_co_u32 v16, vcc_lo, v39, v12
	s_wait_alu 0xfffd
	v_add_co_ci_u32_e32 v17, vcc_lo, v40, v13, vcc_lo
	s_delay_alu instid0(VALU_DEP_4) | instskip(NEXT) | instid1(VALU_DEP_4)
	v_dual_mov_b32 v10, v15 :: v_dual_mov_b32 v13, v19
	v_mov_b32_e32 v12, v9
	s_delay_alu instid0(VALU_DEP_2)
	v_mad_co_u64_u32 v[20:21], null, s3, v20, v[10:11]
	s_clause 0x3
	global_load_b64 v[3:4], v[3:4], off
	global_load_b64 v[5:6], v[5:6], off
	;; [unrolled: 1-line block ×4, first 2 shown]
	v_mad_co_u64_u32 v[16:17], null, s3, v30, v[13:14]
	v_lshlrev_b64_e32 v[11:12], 3, v[11:12]
	v_mov_b32_e32 v15, v20
	v_mad_co_u64_u32 v[20:21], null, s2, v29, 0
	s_delay_alu instid0(VALU_DEP_4) | instskip(SKIP_1) | instid1(VALU_DEP_4)
	v_mov_b32_e32 v19, v16
	v_mad_co_u64_u32 v[16:17], null, s2, v24, 0
	v_lshlrev_b64_e32 v[13:14], 3, v[14:15]
	v_add_co_u32 v11, vcc_lo, v39, v11
	v_mov_b32_e32 v15, v21
	s_wait_alu 0xfffd
	v_add_co_ci_u32_e32 v12, vcc_lo, v40, v12, vcc_lo
	s_delay_alu instid0(VALU_DEP_4) | instskip(NEXT) | instid1(VALU_DEP_3)
	v_add_co_u32 v13, vcc_lo, v39, v13
	v_mad_co_u64_u32 v[21:22], null, s3, v29, v[15:16]
	v_mad_co_u64_u32 v[22:23], null, s2, v32, 0
	v_mov_b32_e32 v15, v17
	v_lshlrev_b64_e32 v[17:18], 3, v[18:19]
	s_wait_alu 0xfffd
	v_add_co_ci_u32_e32 v14, vcc_lo, v40, v14, vcc_lo
	s_delay_alu instid0(VALU_DEP_3) | instskip(SKIP_3) | instid1(VALU_DEP_3)
	v_mad_co_u64_u32 v[24:25], null, s3, v24, v[15:16]
	v_mov_b32_e32 v15, v23
	v_mad_co_u64_u32 v[25:26], null, s2, v37, 0
	v_add_co_u32 v35, vcc_lo, v39, v17
	v_mad_co_u64_u32 v[32:33], null, s3, v32, v[15:16]
	v_mad_co_u64_u32 v[33:34], null, s2, v38, 0
	s_delay_alu instid0(VALU_DEP_4)
	v_mov_b32_e32 v15, v26
	v_mov_b32_e32 v17, v24
	s_wait_alu 0xfffd
	v_add_co_ci_u32_e32 v36, vcc_lo, v40, v18, vcc_lo
	v_lshlrev_b64_e32 v[18:19], 3, v[20:21]
	v_mad_co_u64_u32 v[20:21], null, s3, v37, v[15:16]
	v_lshlrev_b64_e32 v[16:17], 3, v[16:17]
	v_mov_b32_e32 v15, v34
	v_mov_b32_e32 v23, v32
	v_add_co_u32 v18, vcc_lo, v39, v18
	s_wait_alu 0xfffd
	v_add_co_ci_u32_e32 v19, vcc_lo, v40, v19, vcc_lo
	v_mad_co_u64_u32 v[37:38], null, s3, v38, v[15:16]
	v_mov_b32_e32 v26, v20
	v_lshlrev_b64_e32 v[21:22], 3, v[22:23]
	v_add_co_u32 v15, vcc_lo, v39, v16
	s_wait_alu 0xfffd
	v_add_co_ci_u32_e32 v16, vcc_lo, v40, v17, vcc_lo
	v_mov_b32_e32 v34, v37
	v_lshlrev_b64_e32 v[23:24], 3, v[25:26]
	v_add_co_u32 v37, vcc_lo, v39, v21
	s_wait_alu 0xfffd
	v_add_co_ci_u32_e32 v38, vcc_lo, v40, v22, vcc_lo
	v_lshlrev_b64_e32 v[20:21], 3, v[33:34]
	s_delay_alu instid0(VALU_DEP_4) | instskip(SKIP_2) | instid1(VALU_DEP_3)
	v_add_co_u32 v32, vcc_lo, v39, v23
	s_wait_alu 0xfffd
	v_add_co_ci_u32_e32 v33, vcc_lo, v40, v24, vcc_lo
	v_add_co_u32 v39, vcc_lo, v39, v20
	s_wait_alu 0xfffd
	v_add_co_ci_u32_e32 v40, vcc_lo, v40, v21, vcc_lo
	s_clause 0x7
	global_load_b64 v[25:26], v[11:12], off
	global_load_b64 v[23:24], v[13:14], off
	;; [unrolled: 1-line block ×8, first 2 shown]
.LBB0_10:
	s_wait_loadcnt 0x7
	v_dual_add_f32 v32, v9, v25 :: v_dual_add_f32 v35, v10, v26
	v_dual_add_f32 v33, v3, v9 :: v_dual_sub_f32 v34, v10, v26
	v_sub_f32_e32 v9, v9, v25
	s_delay_alu instid0(VALU_DEP_3) | instskip(NEXT) | instid1(VALU_DEP_3)
	v_dual_fmac_f32 v3, -0.5, v32 :: v_dual_add_f32 v10, v4, v10
	v_add_f32_e32 v25, v33, v25
	s_wait_loadcnt 0x6
	v_dual_add_f32 v33, v24, v8 :: v_dual_fmac_f32 v4, -0.5, v35
	v_add_f32_e32 v35, v6, v8
	v_add_f32_e32 v10, v10, v26
	;; [unrolled: 1-line block ×3, first 2 shown]
	s_delay_alu instid0(VALU_DEP_4) | instskip(SKIP_1) | instid1(VALU_DEP_3)
	v_dual_fmac_f32 v6, -0.5, v33 :: v_dual_sub_f32 v33, v7, v23
	v_dual_add_f32 v7, v5, v7 :: v_dual_sub_f32 v8, v8, v24
	v_fmac_f32_e32 v5, -0.5, v26
	v_fmamk_f32 v32, v34, 0xbf5db3d7, v3
	v_dual_fmac_f32 v3, 0x3f5db3d7, v34 :: v_dual_fmamk_f32 v34, v9, 0x3f5db3d7, v4
	v_fmac_f32_e32 v4, 0xbf5db3d7, v9
	v_dual_fmamk_f32 v9, v33, 0x3f5db3d7, v6 :: v_dual_add_f32 v26, v23, v7
	v_dual_fmac_f32 v6, 0xbf5db3d7, v33 :: v_dual_fmamk_f32 v7, v8, 0xbf5db3d7, v5
	v_fmac_f32_e32 v5, 0x3f5db3d7, v8
	s_delay_alu instid0(VALU_DEP_3) | instskip(SKIP_1) | instid1(VALU_DEP_4)
	v_mul_f32_e32 v33, 0xbf5db3d7, v9
	v_mul_lo_u16 v40, v31, 43
	v_mul_f32_e32 v36, 0xbf5db3d7, v6
	v_dual_mul_f32 v37, 0x3f5db3d7, v7 :: v_dual_mul_f32 v38, -0.5, v6
	v_dual_add_f32 v6, v25, v26 :: v_dual_add_f32 v35, v24, v35
	s_delay_alu instid0(VALU_DEP_3) | instskip(NEXT) | instid1(VALU_DEP_3)
	v_dual_fmac_f32 v36, -0.5, v5 :: v_dual_fmac_f32 v33, 0.5, v7
	v_fmac_f32_e32 v38, 0x3f5db3d7, v5
	s_delay_alu instid0(VALU_DEP_4)
	v_fmac_f32_e32 v37, 0.5, v9
	s_wait_loadcnt 0x1
	v_add_f32_e32 v5, v21, v19
	v_dual_add_f32 v7, v10, v35 :: v_dual_add_f32 v8, v32, v33
	v_dual_add_f32 v23, v3, v36 :: v_dual_add_f32 v24, v4, v38
	v_dual_add_f32 v9, v34, v37 :: v_dual_sub_f32 v4, v4, v38
	v_dual_sub_f32 v25, v25, v26 :: v_dual_sub_f32 v26, v10, v35
	v_sub_f32_e32 v32, v32, v33
	v_sub_f32_e32 v33, v34, v37
	v_add_f32_e32 v10, v11, v21
	v_dual_add_f32 v34, v22, v20 :: v_dual_fmac_f32 v11, -0.5, v5
	v_dual_sub_f32 v5, v22, v20 :: v_dual_add_f32 v22, v12, v22
	s_delay_alu instid0(VALU_DEP_3) | instskip(NEXT) | instid1(VALU_DEP_3)
	v_dual_sub_f32 v3, v3, v36 :: v_dual_add_f32 v10, v10, v19
	v_dual_fmac_f32 v12, -0.5, v34 :: v_dual_sub_f32 v19, v21, v19
	s_delay_alu instid0(VALU_DEP_3)
	v_dual_add_f32 v22, v22, v20 :: v_dual_fmamk_f32 v21, v5, 0xbf5db3d7, v11
	v_dual_add_f32 v34, v18, v14 :: v_dual_fmac_f32 v11, 0x3f5db3d7, v5
	s_wait_loadcnt 0x0
	v_dual_add_f32 v20, v17, v15 :: v_dual_add_f32 v5, v18, v16
	v_dual_fmamk_f32 v35, v19, 0x3f5db3d7, v12 :: v_dual_sub_f32 v18, v18, v16
	v_fmac_f32_e32 v12, 0xbf5db3d7, v19
	v_cmp_gt_u64_e32 vcc_lo, s[12:13], v[1:2]
	s_delay_alu instid0(VALU_DEP_4) | instskip(SKIP_1) | instid1(VALU_DEP_1)
	v_dual_fmac_f32 v14, -0.5, v5 :: v_dual_sub_f32 v5, v17, v15
	s_or_b32 s12, s16, vcc_lo
	v_fmamk_f32 v19, v5, 0x3f5db3d7, v14
	v_add_f32_e32 v17, v17, v13
	v_dual_fmac_f32 v13, -0.5, v20 :: v_dual_fmac_f32 v14, 0xbf5db3d7, v5
	s_delay_alu instid0(VALU_DEP_2) | instskip(SKIP_1) | instid1(VALU_DEP_3)
	v_dual_mul_f32 v20, 0xbf5db3d7, v19 :: v_dual_add_f32 v5, v15, v17
	v_add_f32_e32 v37, v16, v34
	v_dual_mul_f32 v36, 0xbf5db3d7, v14 :: v_dual_fmamk_f32 v15, v18, 0xbf5db3d7, v13
	v_fmac_f32_e32 v13, 0x3f5db3d7, v18
	s_delay_alu instid0(VALU_DEP_1) | instskip(NEXT) | instid1(VALU_DEP_3)
	v_fmac_f32_e32 v36, -0.5, v13
	v_fmac_f32_e32 v20, 0.5, v15
	v_dual_mul_f32 v38, 0x3f5db3d7, v15 :: v_dual_mul_f32 v39, -0.5, v14
	v_add_f32_e32 v14, v10, v5
	v_sub_f32_e32 v10, v10, v5
	v_mul_u32_u24_e32 v5, 0x2a0, v31
	s_delay_alu instid0(VALU_DEP_4) | instskip(SKIP_3) | instid1(VALU_DEP_4)
	v_dual_fmac_f32 v38, 0.5, v19 :: v_dual_fmac_f32 v39, 0x3f5db3d7, v13
	v_add_f32_e32 v16, v21, v20
	v_lshlrev_b32_e32 v13, 3, v28
	v_dual_add_f32 v18, v11, v36 :: v_dual_add_f32 v15, v22, v37
	v_add_f32_e32 v17, v35, v38
	v_dual_sub_f32 v34, v11, v36 :: v_dual_sub_f32 v11, v22, v37
	s_delay_alu instid0(VALU_DEP_4)
	v_add3_u32 v5, 0, v5, v13
	v_lshrrev_b16 v36, 8, v40
	v_dual_add_f32 v19, v12, v39 :: v_dual_sub_f32 v20, v21, v20
	v_sub_f32_e32 v21, v35, v38
	v_dual_sub_f32 v35, v12, v39 :: v_dual_and_b32 v12, 0xff, v30
	ds_store_2addr_b64 v5, v[6:7], v[8:9] offset1:14
	v_mul_lo_u16 v7, v36, 6
	ds_store_2addr_b64 v5, v[23:24], v[25:26] offset0:28 offset1:42
	v_and_b32_e32 v8, 0xff, v27
	v_mul_lo_u16 v9, 0xab, v12
	ds_store_2addr_b64 v5, v[32:33], v[3:4] offset0:56 offset1:70
	v_sub_nc_u16 v7, v31, v7
	v_mul_i32_i24_e32 v6, 0x2a0, v30
	v_mul_lo_u16 v32, 0xab, v8
	v_lshrrev_b16 v26, 10, v9
	v_mul_lo_u16 v8, v31, 11
	v_and_b32_e32 v33, 0xff, v7
	v_add3_u32 v6, 0, v6, v13
	v_lshrrev_b16 v37, 10, v32
	v_mul_lo_u16 v3, v26, 6
	v_lshrrev_b16 v60, 8, v8
	v_mul_u32_u24_e32 v4, 3, v33
	ds_store_2addr_b64 v6, v[14:15], v[16:17] offset1:14
	ds_store_2addr_b64 v6, v[18:19], v[10:11] offset0:28 offset1:42
	v_sub_nc_u16 v3, v30, v3
	ds_store_2addr_b64 v6, v[20:21], v[34:35] offset0:56 offset1:70
	v_lshlrev_b32_e32 v4, 3, v4
	global_wb scope:SCOPE_SE
	s_wait_dscnt 0x0
	v_mul_lo_u16 v7, v37, 6
	s_barrier_signal -1
	s_barrier_wait -1
	global_inv scope:SCOPE_SE
	global_load_b128 v[14:17], v4, s[10:11]
	v_and_b32_e32 v56, 0xff, v3
	v_sub_nc_u16 v3, v27, v7
	global_load_b64 v[11:12], v4, s[10:11] offset:16
	v_mul_lo_u16 v35, v60, 24
	v_lshrrev_b16 v61, 12, v9
	v_mul_u32_u24_e32 v7, 3, v56
	v_and_b32_e32 v57, 0xff, v3
	v_lshrrev_b16 v62, 12, v32
	v_sub_nc_u16 v35, v31, v35
	v_mad_i32_i24 v8, 0xfffffdd0, v30, v6
	v_lshlrev_b32_e32 v3, 3, v7
	global_load_b128 v[18:21], v3, s[10:11]
	v_mul_u32_u24_e32 v4, 3, v57
	v_and_b32_e32 v10, 0xff, v29
	s_delay_alu instid0(VALU_DEP_2)
	v_lshlrev_b32_e32 v4, 3, v4
	s_clause 0x2
	global_load_b64 v[48:49], v3, s[10:11] offset:16
	global_load_b128 v[22:25], v4, s[10:11]
	global_load_b64 v[50:51], v4, s[10:11] offset:16
	v_mul_lo_u16 v10, 0xab, v10
	v_and_b32_e32 v34, 0xffff, v36
	v_mul_i32_i24_e32 v4, 0x70, v27
	v_mul_lo_u16 v36, v61, 24
	v_mul_i32_i24_e32 v3, 0x70, v29
	v_lshrrev_b16 v63, 12, v10
	v_mul_u32_u24_e32 v32, 24, v34
	v_and_b32_e32 v34, 0xffff, v37
	v_mul_lo_u16 v37, v62, 24
	v_add3_u32 v7, 0, v4, v13
	v_mad_i32_i24 v4, 0xfffffdd0, v31, v5
	v_mul_lo_u16 v38, v63, 24
	v_mul_u32_u24_e32 v58, 24, v34
	v_and_b32_e32 v64, 0xff, v35
	v_sub_nc_u16 v34, v30, v36
	v_sub_nc_u16 v35, v27, v37
	v_add3_u32 v3, 0, v3, v13
	v_add_nc_u32_e32 v9, 0x2f40, v4
	v_add_nc_u32_e32 v5, 0x3f00, v4
	;; [unrolled: 1-line block ×4, first 2 shown]
	v_sub_nc_u16 v65, v29, v38
	v_or_b32_e32 v59, v32, v33
	v_and_b32_e32 v67, 0xff, v34
	v_and_b32_e32 v68, 0xff, v35
	ds_load_b64 v[52:53], v4
	ds_load_b64 v[54:55], v3
	ds_load_2addr_b64 v[32:35], v9 offset1:252
	ds_load_2addr_b64 v[36:39], v5 offset1:252
	;; [unrolled: 1-line block ×4, first 2 shown]
	v_mul_u32_u24_e32 v69, 0x70, v59
	s_wait_loadcnt_dscnt 0x503
	v_dual_mul_f32 v73, v17, v33 :: v_dual_and_b32 v26, 0xffff, v26
	v_mul_f32_e32 v72, v15, v55
	v_mul_f32_e32 v15, v15, v54
	;; [unrolled: 1-line block ×3, first 2 shown]
	s_delay_alu instid0(VALU_DEP_4)
	v_fmac_f32_e32 v73, v16, v32
	v_mul_u32_u24_e32 v26, 24, v26
	v_fmac_f32_e32 v72, v14, v54
	v_or_b32_e32 v70, v58, v57
	s_wait_loadcnt_dscnt 0x402
	v_mul_f32_e32 v74, v12, v39
	v_mul_f32_e32 v12, v12, v38
	v_or_b32_e32 v26, v26, v56
	ds_load_b64 v[56:57], v8
	ds_load_b64 v[58:59], v7
	v_fma_f32 v14, v14, v55, -v15
	v_fma_f32 v15, v16, v33, -v17
	v_fmac_f32_e32 v74, v11, v38
	v_fma_f32 v11, v11, v39, -v12
	s_wait_loadcnt_dscnt 0x303
	v_mul_f32_e32 v32, v19, v41
	v_dual_mul_f32 v12, v19, v40 :: v_dual_lshlrev_b32 v71, 4, v67
	v_mul_f32_e32 v16, v35, v21
	v_mul_f32_e32 v17, v34, v21
	s_delay_alu instid0(VALU_DEP_4) | instskip(NEXT) | instid1(VALU_DEP_4)
	v_fmac_f32_e32 v32, v18, v40
	v_fma_f32 v18, v18, v41, -v12
	s_wait_loadcnt_dscnt 0x202
	v_mul_f32_e32 v19, v45, v49
	v_mul_f32_e32 v21, v44, v49
	s_wait_loadcnt 0x1
	v_mul_f32_e32 v33, v43, v23
	v_dual_mul_f32 v23, v42, v23 :: v_dual_mul_f32 v38, v37, v25
	s_wait_loadcnt 0x0
	v_mul_f32_e32 v49, v46, v51
	v_dual_mul_f32 v25, v36, v25 :: v_dual_lshlrev_b32 v66, 4, v64
	v_mul_f32_e32 v39, v47, v51
	v_fma_f32 v17, v35, v20, -v17
	v_fmac_f32_e32 v19, v44, v48
	v_dual_fmac_f32 v33, v42, v22 :: v_dual_fmac_f32 v38, v36, v24
	s_delay_alu instid0(VALU_DEP_4)
	v_fmac_f32_e32 v39, v46, v50
	v_dual_sub_f32 v12, v72, v74 :: v_dual_sub_f32 v11, v14, v11
	v_fmac_f32_e32 v16, v34, v20
	v_fma_f32 v20, v45, v48, -v21
	v_fma_f32 v21, v43, v22, -v23
	;; [unrolled: 1-line block ×3, first 2 shown]
	v_dual_sub_f32 v23, v52, v73 :: v_dual_sub_f32 v24, v53, v15
	v_fma_f32 v15, v47, v50, -v49
	v_fma_f32 v35, v72, 2.0, -v12
	v_fma_f32 v36, v14, 2.0, -v11
	s_delay_alu instid0(VALU_DEP_4)
	v_add_f32_e32 v11, v23, v11
	v_fma_f32 v25, v52, 2.0, -v23
	s_wait_dscnt 0x0
	v_dual_sub_f32 v12, v24, v12 :: v_dual_sub_f32 v41, v59, v22
	v_dual_sub_f32 v37, v56, v16 :: v_dual_sub_f32 v40, v57, v17
	;; [unrolled: 1-line block ×3, first 2 shown]
	v_fma_f32 v34, v53, 2.0, -v24
	v_sub_f32_e32 v38, v58, v38
	v_sub_f32_e32 v22, v33, v39
	;; [unrolled: 1-line block ×3, first 2 shown]
	v_fma_f32 v17, v24, 2.0, -v12
	v_sub_f32_e32 v15, v34, v36
	v_fma_f32 v42, v56, 2.0, -v37
	v_fma_f32 v43, v57, 2.0, -v40
	;; [unrolled: 1-line block ×4, first 2 shown]
	v_sub_f32_e32 v14, v25, v35
	v_fma_f32 v44, v58, 2.0, -v38
	v_fma_f32 v45, v59, 2.0, -v41
	;; [unrolled: 1-line block ×4, first 2 shown]
	v_mul_u32_u24_e32 v26, 0x70, v26
	v_dual_add_f32 v18, v37, v20 :: v_dual_sub_f32 v19, v40, v19
	v_dual_add_f32 v20, v38, v39 :: v_dual_sub_f32 v21, v41, v22
	v_fma_f32 v22, v25, 2.0, -v14
	v_sub_f32_e32 v24, v42, v24
	v_sub_f32_e32 v25, v43, v32
	v_mul_u32_u24_e32 v70, 0x70, v70
	v_fma_f32 v16, v23, 2.0, -v11
	v_fma_f32 v23, v34, 2.0, -v15
	v_dual_sub_f32 v34, v44, v35 :: v_dual_sub_f32 v35, v45, v36
	v_add3_u32 v69, 0, v69, v13
	v_add3_u32 v26, 0, v26, v13
	v_fma_f32 v32, v37, 2.0, -v18
	v_fma_f32 v33, v40, 2.0, -v19
	;; [unrolled: 1-line block ×5, first 2 shown]
	v_add3_u32 v70, 0, v70, v13
	v_fma_f32 v37, v41, 2.0, -v21
	v_fma_f32 v40, v44, 2.0, -v34
	v_fma_f32 v41, v45, 2.0, -v35
	global_wb scope:SCOPE_SE
	s_barrier_signal -1
	s_barrier_wait -1
	global_inv scope:SCOPE_SE
	ds_store_2addr_b64 v69, v[14:15], v[11:12] offset0:168 offset1:252
	ds_store_2addr_b64 v69, v[22:23], v[16:17] offset1:84
	ds_store_2addr_b64 v26, v[24:25], v[18:19] offset0:168 offset1:252
	ds_store_2addr_b64 v26, v[38:39], v[32:33] offset1:84
	ds_store_2addr_b64 v70, v[40:41], v[36:37] offset1:84
	ds_store_2addr_b64 v70, v[34:35], v[20:21] offset0:168 offset1:252
	v_and_b32_e32 v11, 0xff, v65
	global_wb scope:SCOPE_SE
	s_wait_dscnt 0x0
	s_barrier_signal -1
	s_barrier_wait -1
	global_inv scope:SCOPE_SE
	s_clause 0x1
	global_load_b128 v[14:17], v66, s[10:11] offset:144
	global_load_b128 v[18:21], v71, s[10:11] offset:144
	v_lshlrev_b32_e32 v12, 4, v68
	v_lshlrev_b32_e32 v26, 4, v11
	s_clause 0x1
	global_load_b128 v[22:25], v12, s[10:11] offset:144
	global_load_b128 v[32:35], v26, s[10:11] offset:144
	ds_load_2addr_b64 v[44:47], v9 offset1:252
	ds_load_2addr_b64 v[40:43], v5 offset1:252
	v_and_b32_e32 v26, 0xffff, v61
	v_and_b32_e32 v36, 0xffff, v62
	;; [unrolled: 1-line block ×3, first 2 shown]
	ds_load_2addr_b64 v[48:51], v10 offset1:252
	v_mad_u32_u24 v2, 0x48, v26, v67
	s_delay_alu instid0(VALU_DEP_1) | instskip(NEXT) | instid1(VALU_DEP_1)
	v_mul_u32_u24_e32 v2, 0x70, v2
	v_add3_u32 v2, 0, v2, v13
	s_wait_loadcnt_dscnt 0x201
	v_mul_f32_e32 v62, v21, v43
	v_mul_f32_e32 v21, v21, v42
	s_wait_loadcnt 0x1
	v_mul_f32_e32 v63, v23, v45
	s_wait_loadcnt_dscnt 0x0
	v_mul_f32_e32 v66, v51, v35
	v_mad_u32_u24 v26, 0x48, v36, v68
	v_dual_mul_f32 v23, v23, v44 :: v_dual_fmac_f32 v62, v20, v42
	s_delay_alu instid0(VALU_DEP_3) | instskip(NEXT) | instid1(VALU_DEP_3)
	v_fmac_f32_e32 v66, v50, v34
	v_mul_u32_u24_e32 v26, 0x70, v26
	s_delay_alu instid0(VALU_DEP_1)
	v_add3_u32 v59, 0, v26, v13
	v_mul_f32_e32 v26, v17, v41
	v_mad_u32_u24 v11, 0x48, v37, v11
	ds_load_2addr_b64 v[36:39], v6 offset1:252
	v_and_b32_e32 v12, 0xffff, v60
	v_mul_f32_e32 v17, v17, v40
	v_dual_mul_f32 v65, v47, v33 :: v_dual_fmac_f32 v26, v16, v40
	v_mul_u32_u24_e32 v11, 0x70, v11
	v_mul_f32_e32 v33, v46, v33
	s_delay_alu instid0(VALU_DEP_2)
	v_add3_u32 v60, 0, v11, v13
	s_wait_dscnt 0x0
	v_mul_f32_e32 v61, v19, v39
	v_mad_u32_u24 v12, 0x48, v12, v64
	v_dual_mul_f32 v19, v19, v38 :: v_dual_mul_f32 v64, v49, v25
	v_mul_f32_e32 v25, v48, v25
	v_mul_f32_e32 v35, v50, v35
	s_delay_alu instid0(VALU_DEP_4) | instskip(NEXT) | instid1(VALU_DEP_4)
	v_mul_u32_u24_e32 v12, 0x70, v12
	v_fmac_f32_e32 v64, v48, v24
	s_delay_alu instid0(VALU_DEP_2)
	v_add3_u32 v58, 0, v12, v13
	ds_load_b64 v[11:12], v4
	ds_load_b64 v[52:53], v7
	;; [unrolled: 1-line block ×4, first 2 shown]
	v_mul_f32_e32 v13, v15, v37
	v_mul_f32_e32 v15, v15, v36
	global_wb scope:SCOPE_SE
	s_wait_dscnt 0x0
	s_barrier_signal -1
	s_barrier_wait -1
	v_fmac_f32_e32 v13, v14, v36
	v_fma_f32 v14, v14, v37, -v15
	v_fma_f32 v15, v16, v41, -v17
	;; [unrolled: 1-line block ×4, first 2 shown]
	v_fmac_f32_e32 v63, v22, v44
	v_fma_f32 v19, v49, v24, -v25
	v_fma_f32 v20, v47, v32, -v33
	;; [unrolled: 1-line block ×3, first 2 shown]
	v_dual_sub_f32 v36, v16, v17 :: v_dual_fmac_f32 v61, v18, v38
	v_fma_f32 v18, v22, v45, -v23
	v_add_f32_e32 v22, v11, v13
	v_dual_add_f32 v38, v16, v17 :: v_dual_fmac_f32 v65, v46, v32
	v_dual_add_f32 v40, v52, v63 :: v_dual_add_f32 v23, v13, v26
	v_dual_sub_f32 v24, v14, v15 :: v_dual_add_f32 v25, v12, v14
	v_dual_add_f32 v32, v14, v15 :: v_dual_add_f32 v35, v61, v62
	v_dual_sub_f32 v42, v18, v19 :: v_dual_add_f32 v37, v55, v16
	;; [unrolled: 2-line block ×3, first 2 shown]
	v_dual_add_f32 v50, v20, v21 :: v_dual_add_f32 v47, v65, v66
	v_dual_fmac_f32 v12, -0.5, v32 :: v_dual_sub_f32 v33, v13, v26
	v_dual_add_f32 v34, v54, v61 :: v_dual_add_f32 v49, v57, v20
	s_delay_alu instid0(VALU_DEP_4)
	v_add_f32_e32 v18, v43, v19
	v_fma_f32 v11, -0.5, v23, v11
	v_dual_sub_f32 v39, v61, v62 :: v_dual_add_f32 v46, v56, v65
	v_fma_f32 v54, -0.5, v35, v54
	v_fmac_f32_e32 v55, -0.5, v38
	v_dual_sub_f32 v45, v63, v64 :: v_dual_add_f32 v14, v25, v15
	v_sub_f32_e32 v51, v65, v66
	v_dual_add_f32 v13, v22, v26 :: v_dual_add_f32 v16, v37, v17
	v_fma_f32 v52, -0.5, v41, v52
	v_fmac_f32_e32 v53, -0.5, v44
	v_fma_f32 v56, -0.5, v47, v56
	v_fmac_f32_e32 v57, -0.5, v50
	v_dual_add_f32 v15, v34, v62 :: v_dual_add_f32 v20, v49, v21
	v_fmamk_f32 v21, v24, 0xbf5db3d7, v11
	v_dual_fmamk_f32 v22, v33, 0x3f5db3d7, v12 :: v_dual_fmac_f32 v11, 0x3f5db3d7, v24
	v_dual_fmac_f32 v12, 0xbf5db3d7, v33 :: v_dual_add_f32 v17, v40, v64
	v_fmamk_f32 v24, v39, 0x3f5db3d7, v55
	v_fmamk_f32 v23, v36, 0xbf5db3d7, v54
	global_inv scope:SCOPE_SE
	v_dual_add_f32 v19, v46, v66 :: v_dual_fmac_f32 v54, 0x3f5db3d7, v36
	v_fmac_f32_e32 v55, 0xbf5db3d7, v39
	v_fmamk_f32 v25, v42, 0xbf5db3d7, v52
	v_fmac_f32_e32 v52, 0x3f5db3d7, v42
	v_fmamk_f32 v26, v45, 0x3f5db3d7, v53
	v_dual_fmac_f32 v53, 0xbf5db3d7, v45 :: v_dual_fmamk_f32 v32, v48, 0xbf5db3d7, v56
	v_dual_fmac_f32 v56, 0x3f5db3d7, v48 :: v_dual_fmamk_f32 v33, v51, 0x3f5db3d7, v57
	v_fmac_f32_e32 v57, 0xbf5db3d7, v51
	ds_store_b64 v58, v[13:14]
	ds_store_b64 v58, v[21:22] offset:2688
	ds_store_b64 v58, v[11:12] offset:5376
	ds_store_b64 v2, v[15:16]
	ds_store_b64 v2, v[23:24] offset:2688
	ds_store_b64 v2, v[54:55] offset:5376
	;; [unrolled: 3-line block ×4, first 2 shown]
	global_wb scope:SCOPE_SE
	s_wait_dscnt 0x0
	s_barrier_signal -1
	s_barrier_wait -1
	global_inv scope:SCOPE_SE
	s_wait_alu 0xfffe
	s_and_saveexec_b32 s13, s12
	s_cbranch_execz .LBB0_12
; %bb.11:
	v_subrev_nc_u32_e32 v2, 18, v31
	v_cmp_gt_u32_e32 vcc_lo, 0xfc, v0
	v_subrev_nc_u32_e32 v11, 36, v31
	s_load_b64 s[0:1], s[0:1], 0x8
	v_subrev_nc_u32_e32 v21, 54, v31
	v_cndmask_b32_e32 v2, v2, v29, vcc_lo
	v_cmp_gt_u32_e32 vcc_lo, 0x1f8, v0
	s_wait_alu 0xfffd
	v_dual_cndmask_b32 v19, v11, v27 :: v_dual_mov_b32 v24, 0
	s_delay_alu instid0(VALU_DEP_3) | instskip(SKIP_1) | instid1(VALU_DEP_2)
	v_lshlrev_b32_e32 v23, 1, v2
	v_mul_lo_u32 v20, v1, v2
	v_lshlrev_b64_e32 v[11:12], 3, v[23:24]
	s_delay_alu instid0(VALU_DEP_1) | instskip(SKIP_1) | instid1(VALU_DEP_2)
	v_add_co_u32 v11, vcc_lo, s10, v11
	s_wait_alu 0xfffd
	v_add_co_ci_u32_e32 v12, vcc_lo, s11, v12, vcc_lo
	global_load_b128 v[11:14], v[11:12], off offset:528
	v_lshlrev_b32_e32 v23, 1, v19
	s_delay_alu instid0(VALU_DEP_1) | instskip(SKIP_1) | instid1(VALU_DEP_2)
	v_lshlrev_b64_e32 v[15:16], 3, v[23:24]
	v_mul_lo_u32 v23, v1, v19
	v_add_co_u32 v15, vcc_lo, s10, v15
	s_wait_alu 0xfffd
	s_delay_alu instid0(VALU_DEP_3)
	v_add_co_ci_u32_e32 v16, vcc_lo, s11, v16, vcc_lo
	v_cmp_gt_u32_e32 vcc_lo, 0x2f4, v0
	v_add_nc_u32_e32 v22, 0xffffffb8, v31
	global_load_b128 v[15:18], v[15:16], off offset:528
	v_and_b32_e32 v25, 0xff, v20
	s_wait_alu 0xfffd
	v_cndmask_b32_e32 v21, v21, v30, vcc_lo
	v_cmp_gt_u32_e32 vcc_lo, 0x3f0, v0
	v_lshrrev_b32_e32 v20, 5, v20
	v_lshlrev_b32_e32 v25, 3, v25
	s_wait_alu 0xfffd
	s_delay_alu instid0(VALU_DEP_2) | instskip(SKIP_3) | instid1(VALU_DEP_4)
	v_dual_cndmask_b32 v89, v22, v31 :: v_dual_and_b32 v20, 0x7f8, v20
	v_mul_lo_u32 v22, v1, v21
	v_and_b32_e32 v31, 0xff, v23
	v_lshrrev_b32_e32 v23, 5, v23
	v_mul_lo_u32 v26, v1, v89
	s_wait_kmcnt 0x0
	s_clause 0x1
	global_load_b64 v[39:40], v25, s[0:1]
	global_load_b64 v[41:42], v20, s[0:1] offset:2048
	v_lshlrev_b32_e32 v25, 3, v31
	v_and_b32_e32 v23, 0x7f8, v23
	v_and_b32_e32 v20, 0xff, v22
	v_lshrrev_b32_e32 v22, 5, v22
	s_clause 0x1
	global_load_b64 v[43:44], v25, s[0:1]
	global_load_b64 v[45:46], v23, s[0:1] offset:2048
	v_and_b32_e32 v31, 0xff, v26
	v_lshlrev_b32_e32 v20, 3, v20
	v_and_b32_e32 v22, 0x7f8, v22
	v_lshrrev_b32_e32 v23, 5, v26
	s_clause 0x1
	global_load_b64 v[47:48], v20, s[0:1]
	global_load_b64 v[49:50], v22, s[0:1] offset:2048
	v_lshlrev_b32_e32 v20, 3, v31
	v_and_b32_e32 v22, 0x7f8, v23
	s_clause 0x1
	global_load_b64 v[51:52], v20, s[0:1]
	global_load_b64 v[53:54], v22, s[0:1] offset:2048
	v_add_nc_u32_e32 v20, 0x90, v2
	v_add_nc_u32_e32 v2, 0x48, v2
	;; [unrolled: 1-line block ×5, first 2 shown]
	v_mul_lo_u32 v20, v1, v20
	v_mul_lo_u32 v2, v1, v2
	;; [unrolled: 1-line block ×5, first 2 shown]
	v_add_nc_u32_e32 v25, 0x48, v21
	v_add_nc_u32_e32 v26, 0x90, v89
	;; [unrolled: 1-line block ×3, first 2 shown]
	v_and_b32_e32 v32, 0xff, v20
	v_lshrrev_b32_e32 v20, 5, v20
	v_mul_lo_u32 v25, v1, v25
	v_mul_lo_u32 v26, v1, v26
	;; [unrolled: 1-line block ×3, first 2 shown]
	v_lshlrev_b32_e32 v23, 3, v32
	v_and_b32_e32 v32, 0xff, v2
	v_and_b32_e32 v20, 0x7f8, v20
	v_lshrrev_b32_e32 v2, 5, v2
	s_clause 0x1
	global_load_b64 v[55:56], v23, s[0:1]
	global_load_b64 v[57:58], v20, s[0:1] offset:2048
	v_lshlrev_b32_e32 v20, 3, v32
	v_and_b32_e32 v32, 0xff, v22
	v_and_b32_e32 v23, 0x7f8, v2
	v_lshrrev_b32_e32 v22, 5, v22
	s_clause 0x1
	global_load_b64 v[1:2], v20, s[0:1]
	global_load_b64 v[59:60], v23, s[0:1] offset:2048
	v_lshlrev_b32_e32 v20, 3, v32
	v_lshlrev_b32_e32 v23, 1, v21
	v_and_b32_e32 v21, 0xff, v19
	v_and_b32_e32 v22, 0x7f8, v22
	v_lshrrev_b32_e32 v19, 5, v19
	s_clause 0x1
	global_load_b64 v[61:62], v20, s[0:1]
	global_load_b64 v[63:64], v22, s[0:1] offset:2048
	v_and_b32_e32 v20, 0xff, v33
	v_lshlrev_b32_e32 v21, 3, v21
	v_lshrrev_b32_e32 v22, 5, v33
	v_and_b32_e32 v19, 0x7f8, v19
	v_and_b32_e32 v32, 0xff, v25
	v_lshrrev_b32_e32 v25, 5, v25
	s_clause 0x1
	global_load_b64 v[65:66], v21, s[0:1]
	global_load_b64 v[67:68], v19, s[0:1] offset:2048
	v_lshlrev_b32_e32 v19, 3, v20
	v_and_b32_e32 v20, 0x7f8, v22
	v_and_b32_e32 v21, 0xff, v31
	v_lshrrev_b32_e32 v22, 5, v31
	v_lshlrev_b32_e32 v31, 3, v32
	s_clause 0x1
	global_load_b64 v[69:70], v19, s[0:1]
	global_load_b64 v[71:72], v20, s[0:1] offset:2048
	v_and_b32_e32 v19, 0x7f8, v25
	s_clause 0x1
	global_load_b64 v[73:74], v31, s[0:1]
	global_load_b64 v[75:76], v19, s[0:1] offset:2048
	v_lshlrev_b64_e32 v[19:20], 3, v[23:24]
	v_and_b32_e32 v33, 0xff, v26
	v_lshrrev_b32_e32 v26, 5, v26
	v_lshlrev_b32_e32 v21, 3, v21
	v_and_b32_e32 v22, 0x7f8, v22
	v_add_co_u32 v19, vcc_lo, s10, v19
	v_lshlrev_b32_e32 v25, 3, v33
	s_wait_alu 0xfffd
	v_add_co_ci_u32_e32 v20, vcc_lo, s11, v20, vcc_lo
	v_and_b32_e32 v26, 0x7f8, v26
	s_clause 0x3
	global_load_b64 v[77:78], v25, s[0:1]
	global_load_b64 v[79:80], v26, s[0:1] offset:2048
	global_load_b64 v[81:82], v21, s[0:1]
	global_load_b64 v[83:84], v22, s[0:1] offset:2048
	global_load_b128 v[19:22], v[19:20], off offset:528
	v_lshlrev_b32_e32 v23, 1, v89
	s_lshl_b64 s[0:1], s[6:7], 3
	s_delay_alu instid0(SALU_CYCLE_1) | instskip(NEXT) | instid1(VALU_DEP_1)
	s_add_nc_u64 s[0:1], s[8:9], s[0:1]
	v_lshlrev_b64_e32 v[23:24], 3, v[23:24]
	s_delay_alu instid0(VALU_DEP_1) | instskip(SKIP_1) | instid1(VALU_DEP_2)
	v_add_co_u32 v23, vcc_lo, s10, v23
	s_wait_alu 0xfffd
	v_add_co_ci_u32_e32 v24, vcc_lo, s11, v24, vcc_lo
	v_cmp_lt_u32_e32 vcc_lo, 0x3ef, v0
	global_load_b128 v[23:26], v[23:24], off offset:528
	ds_load_2addr_b64 v[31:34], v9 offset1:252
	ds_load_2addr_b64 v[35:38], v10 offset1:252
	ds_load_b64 v[85:86], v7
	ds_load_b64 v[87:88], v8
	s_wait_loadcnt_dscnt 0x1b03
	v_mul_f32_e32 v9, v33, v12
	s_wait_dscnt 0x2
	v_mul_f32_e32 v10, v37, v14
	v_mul_f32_e32 v90, v34, v12
	;; [unrolled: 1-line block ×3, first 2 shown]
	v_fma_f32 v92, v34, v11, -v9
	s_delay_alu instid0(VALU_DEP_4) | instskip(NEXT) | instid1(VALU_DEP_4)
	v_fma_f32 v93, v38, v13, -v10
	v_fmac_f32_e32 v90, v33, v11
	s_delay_alu instid0(VALU_DEP_4)
	v_fmac_f32_e32 v91, v37, v13
	s_wait_loadcnt 0x1a
	v_dual_mul_f32 v7, v16, v31 :: v_dual_mul_f32 v14, v35, v18
	v_mul_f32_e32 v95, v36, v18
	v_mul_f32_e32 v94, v16, v32
	s_wait_alu 0xfffd
	v_cndmask_b32_e64 v18, 0, 0xd8, vcc_lo
	v_fma_f32 v96, v15, v32, -v7
	ds_load_2addr_b64 v[6:9], v6 offset1:252
	ds_load_2addr_b64 v[10:13], v5 offset1:252
	v_fma_f32 v97, v36, v17, -v14
	v_fmac_f32_e32 v95, v35, v17
	v_mad_co_u64_u32 v[16:17], null, s4, v28, 0
	v_dual_fmac_f32 v94, v15, v31 :: v_dual_add_nc_u32 v37, v89, v18
	v_cmp_lt_u32_e32 vcc_lo, 0x2f3, v0
	s_wait_loadcnt 0x18
	v_mul_f32_e32 v5, v40, v42
	v_mul_f32_e32 v42, v39, v42
	ds_load_b64 v[14:15], v3
	ds_load_b64 v[3:4], v4
	s_wait_alu 0xfffd
	v_cndmask_b32_e64 v98, 0, 0x90, vcc_lo
	v_fma_f32 v99, v39, v41, -v5
	v_mov_b32_e32 v5, v17
	s_wait_loadcnt 0x16
	v_mul_f32_e32 v31, v44, v46
	v_dual_fmac_f32 v42, v40, v41 :: v_dual_mul_f32 v41, v43, v46
	v_add_nc_u32_e32 v46, 0x90, v37
	s_wait_dscnt 0x3
	v_mad_co_u64_u32 v[17:18], null, s5, v28, v[5:6]
	v_fma_f32 v43, v43, v45, -v31
	v_mad_co_u64_u32 v[31:32], null, s2, v37, 0
	s_wait_loadcnt 0x14
	v_dual_mul_f32 v5, v48, v50 :: v_dual_add_nc_u32 v18, 0x48, v37
	v_dual_fmac_f32 v41, v44, v45 :: v_dual_mul_f32 v28, v47, v50
	s_wait_loadcnt 0x12
	v_mul_f32_e32 v35, v52, v54
	s_delay_alu instid0(VALU_DEP_3)
	v_mad_co_u64_u32 v[33:34], null, s2, v18, 0
	v_fma_f32 v44, v47, v49, -v5
	v_mov_b32_e32 v5, v32
	v_mul_f32_e32 v45, v51, v54
	v_fma_f32 v47, v51, v53, -v35
	v_add_nc_u32_e32 v30, v30, v98
	v_lshlrev_b64_e32 v[16:17], 3, v[16:17]
	v_mad_co_u64_u32 v[37:38], null, s3, v37, v[5:6]
	v_mov_b32_e32 v5, v34
	v_fmac_f32_e32 v45, v52, v53
	v_cmp_lt_u32_e32 vcc_lo, 0x1f7, v0
	v_fmac_f32_e32 v28, v48, v49
	s_delay_alu instid0(VALU_DEP_4) | instskip(SKIP_3) | instid1(VALU_DEP_3)
	v_mad_co_u64_u32 v[38:39], null, s3, v18, v[5:6]
	v_mov_b32_e32 v32, v37
	s_wait_alu 0xfffd
	v_cndmask_b32_e64 v48, 0, 0x90, vcc_lo
	v_mov_b32_e32 v34, v38
	s_wait_loadcnt 0xe
	v_dual_mul_f32 v18, v56, v58 :: v_dual_mul_f32 v51, v1, v60
	v_mad_co_u64_u32 v[35:36], null, s2, v46, 0
	s_delay_alu instid0(VALU_DEP_2) | instskip(SKIP_3) | instid1(VALU_DEP_4)
	v_fmac_f32_e32 v51, v2, v59
	s_wait_loadcnt 0xc
	v_mul_f32_e32 v53, v61, v64
	v_mad_co_u64_u32 v[39:40], null, s2, v30, 0
	v_dual_mov_b32 v5, v36 :: v_dual_add_nc_u32 v50, 0x48, v30
	s_delay_alu instid0(VALU_DEP_3) | instskip(NEXT) | instid1(VALU_DEP_2)
	v_dual_fmac_f32 v53, v62, v63 :: v_dual_add_nc_u32 v38, 0x90, v30
	v_mad_co_u64_u32 v[36:37], null, s3, v46, v[5:6]
	s_delay_alu instid0(VALU_DEP_4)
	v_mov_b32_e32 v5, v40
	v_mul_f32_e32 v37, v55, v58
	v_add_co_u32 v46, vcc_lo, s0, v16
	s_wait_alu 0xfffd
	v_add_co_ci_u32_e32 v49, vcc_lo, s1, v17, vcc_lo
	v_mad_co_u64_u32 v[16:17], null, s3, v30, v[5:6]
	v_fmac_f32_e32 v37, v56, v57
	v_mul_f32_e32 v5, v2, v60
	s_wait_loadcnt 0xa
	v_mul_f32_e32 v56, v65, v68
	v_fma_f32 v40, v55, v57, -v18
	v_mad_co_u64_u32 v[17:18], null, s2, v50, 0
	v_fma_f32 v52, v1, v59, -v5
	v_mul_f32_e32 v5, v62, v64
	v_mul_f32_e32 v55, v66, v68
	v_fmac_f32_e32 v56, v66, v67
	v_add_f32_e32 v66, v90, v91
	s_wait_dscnt 0x1
	v_add_f32_e32 v68, v14, v90
	v_lshlrev_b64_e32 v[30:31], 3, v[31:32]
	v_fma_f32 v54, v61, v63, -v5
	v_mov_b32_e32 v5, v18
	v_lshlrev_b64_e32 v[32:33], 3, v[33:34]
	v_lshlrev_b64_e32 v[34:35], 3, v[35:36]
	s_wait_loadcnt 0x8
	v_mul_f32_e32 v36, v70, v72
	s_wait_loadcnt 0x2
	v_dual_mul_f32 v62, v81, v84 :: v_dual_add_f32 v63, v92, v93
	v_fma_f32 v14, -0.5, v66, v14
	v_add_f32_e32 v66, v68, v91
	v_fma_f32 v18, v65, v67, -v55
	s_delay_alu instid0(VALU_DEP_4)
	v_dual_fmac_f32 v62, v82, v83 :: v_dual_mul_f32 v55, v69, v72
	v_mul_f32_e32 v57, v74, v76
	v_mul_f32_e32 v58, v73, v76
	v_fma_f32 v36, v69, v71, -v36
	v_sub_f32_e32 v64, v90, v91
	v_fmac_f32_e32 v55, v70, v71
	v_dual_add_f32 v67, v15, v92 :: v_dual_add_f32 v72, v94, v95
	s_wait_loadcnt 0x1
	v_mul_f32_e32 v69, v20, v8
	v_mul_f32_e32 v70, v22, v12
	;; [unrolled: 1-line block ×4, first 2 shown]
	v_fma_f32 v15, -0.5, v63, v15
	v_mul_f32_e32 v59, v78, v80
	v_dual_fmac_f32 v58, v74, v75 :: v_dual_sub_f32 v65, v92, v93
	v_dual_sub_f32 v68, v94, v95 :: v_dual_add_f32 v63, v67, v93
	v_add_f32_e32 v74, v85, v94
	v_fma_f32 v13, v21, v13, -v70
	v_fmac_f32_e32 v20, v19, v8
	v_fmac_f32_e32 v22, v21, v12
	s_wait_loadcnt 0x0
	v_mul_f32_e32 v12, v24, v6
	v_fma_f32 v57, v73, v75, -v57
	v_mul_f32_e32 v21, v24, v7
	v_mul_f32_e32 v24, v26, v11
	v_fma_f32 v9, v19, v9, -v69
	v_add_f32_e32 v73, v86, v96
	v_dual_mul_f32 v19, v26, v10 :: v_dual_fmamk_f32 v26, v64, 0xbf5db3d7, v15
	s_delay_alu instid0(VALU_DEP_4)
	v_dual_fmac_f32 v15, 0x3f5db3d7, v64 :: v_dual_fmac_f32 v24, v25, v10
	v_dual_mul_f32 v64, v66, v42 :: v_dual_add_f32 v67, v96, v97
	v_mul_f32_e32 v8, v63, v42
	v_mul_f32_e32 v60, v77, v80
	;; [unrolled: 1-line block ×3, first 2 shown]
	v_fma_f32 v59, v77, v79, -v59
	v_dual_sub_f32 v71, v96, v97 :: v_dual_add_f32 v70, v74, v95
	v_dual_fmamk_f32 v69, v65, 0x3f5db3d7, v14 :: v_dual_add_f32 v76, v88, v9
	v_fmac_f32_e32 v14, 0xbf5db3d7, v65
	v_fma_f32 v42, -0.5, v67, v86
	v_fma_f32 v65, -0.5, v72, v85
	v_add_f32_e32 v72, v9, v13
	v_dual_add_f32 v67, v73, v97 :: v_dual_mul_f32 v10, v15, v51
	v_dual_sub_f32 v73, v20, v22 :: v_dual_sub_f32 v74, v9, v13
	v_dual_add_f32 v75, v20, v22 :: v_dual_fmac_f32 v8, v66, v99
	v_add_f32_e32 v20, v87, v20
	v_fma_f32 v7, v23, v7, -v12
	v_fma_f32 v77, v25, v11, -v19
	v_fmac_f32_e32 v21, v23, v6
	v_mul_f32_e32 v11, v69, v37
	v_mul_f32_e32 v6, v26, v37
	v_dual_mul_f32 v19, v14, v51 :: v_dual_mul_f32 v12, v67, v41
	v_fma_f32 v9, v63, v99, -v64
	v_fmamk_f32 v23, v68, 0xbf5db3d7, v42
	v_dual_fmac_f32 v42, 0x3f5db3d7, v68 :: v_dual_fmamk_f32 v25, v71, 0x3f5db3d7, v65
	v_dual_sub_f32 v66, v21, v24 :: v_dual_fmac_f32 v65, 0xbf5db3d7, v71
	v_sub_f32_e32 v68, v7, v77
	v_mul_f32_e32 v37, v70, v41
	v_fma_f32 v41, -0.5, v72, v88
	v_fma_f32 v51, -0.5, v75, v87
	v_dual_add_f32 v63, v76, v13 :: v_dual_fmac_f32 v6, v69, v40
	v_add_f32_e32 v64, v20, v22
	v_add_f32_e32 v20, v7, v77
	s_wait_dscnt 0x0
	v_dual_add_f32 v22, v21, v24 :: v_dual_add_f32 v71, v4, v7
	v_add_f32_e32 v72, v3, v21
	v_fma_f32 v7, v26, v40, -v11
	v_fma_f32 v11, v15, v52, -v19
	v_dual_fmac_f32 v10, v14, v52 :: v_dual_mul_f32 v15, v25, v53
	v_dual_mul_f32 v14, v23, v53 :: v_dual_mul_f32 v19, v42, v56
	v_mul_f32_e32 v26, v65, v56
	v_fma_f32 v13, v67, v43, -v37
	v_dual_fmac_f32 v12, v70, v43 :: v_dual_fmamk_f32 v37, v73, 0xbf5db3d7, v41
	v_dual_fmamk_f32 v40, v74, 0x3f5db3d7, v51 :: v_dual_mul_f32 v43, v64, v28
	v_fmac_f32_e32 v41, 0x3f5db3d7, v73
	v_dual_mul_f32 v21, v63, v28 :: v_dual_fmac_f32 v14, v25, v54
	v_fma_f32 v28, -0.5, v20, v4
	v_fma_f32 v52, -0.5, v22, v3
	v_dual_fmac_f32 v51, 0xbf5db3d7, v74 :: v_dual_add_f32 v56, v72, v24
	v_dual_add_f32 v53, v71, v77 :: v_dual_mul_f32 v4, v40, v55
	v_fma_f32 v15, v23, v54, -v15
	v_fma_f32 v20, v42, v18, -v26
	v_dual_fmac_f32 v19, v65, v18 :: v_dual_fmamk_f32 v42, v66, 0xbf5db3d7, v28
	v_dual_mul_f32 v3, v37, v55 :: v_dual_mul_f32 v18, v51, v58
	v_mul_f32_e32 v23, v41, v58
	v_fma_f32 v22, v63, v44, -v43
	v_dual_fmac_f32 v21, v64, v44 :: v_dual_fmac_f32 v28, 0x3f5db3d7, v66
	v_fmamk_f32 v43, v68, 0x3f5db3d7, v52
	v_fmac_f32_e32 v52, 0xbf5db3d7, v68
	v_fmac_f32_e32 v60, v78, v79
	v_mul_f32_e32 v26, v56, v45
	v_mul_f32_e32 v25, v53, v45
	v_add_co_u32 v1, vcc_lo, v46, v30
	v_fma_f32 v61, v81, v83, -v61
	v_fma_f32 v4, v37, v36, -v4
	v_fmac_f32_e32 v3, v40, v36
	v_mul_f32_e32 v37, v52, v62
	v_dual_mul_f32 v36, v28, v62 :: v_dual_fmac_f32 v23, v51, v57
	s_wait_alu 0xfffd
	v_add_co_ci_u32_e32 v2, vcc_lo, v49, v31, vcc_lo
	v_add_co_u32 v32, vcc_lo, v46, v32
	v_fma_f32 v24, v41, v57, -v18
	v_mul_f32_e32 v18, v43, v60
	v_mul_f32_e32 v41, v42, v60
	v_fma_f32 v26, v53, v47, -v26
	v_fmac_f32_e32 v25, v56, v47
	s_wait_alu 0xfffd
	v_add_co_ci_u32_e32 v33, vcc_lo, v49, v33, vcc_lo
	v_fma_f32 v37, v28, v61, -v37
	v_fmac_f32_e32 v36, v52, v61
	s_clause 0x1
	global_store_b64 v[1:2], v[25:26], off
	global_store_b64 v[32:33], v[36:37], off
	v_mad_co_u64_u32 v[25:26], null, s3, v50, v[5:6]
	v_mad_co_u64_u32 v[30:31], null, s2, v38, 0
	v_add_co_u32 v1, vcc_lo, v46, v34
	v_fma_f32 v42, v42, v59, -v18
	s_wait_alu 0xfffd
	v_add_co_ci_u32_e32 v2, vcc_lo, v49, v35, vcc_lo
	v_dual_mov_b32 v40, v16 :: v_dual_add_nc_u32 v33, v27, v48
	v_dual_mov_b32 v18, v25 :: v_dual_fmac_f32 v41, v43, v59
	v_mov_b32_e32 v5, v31
	s_delay_alu instid0(VALU_DEP_3)
	v_mad_co_u64_u32 v[26:27], null, s2, v33, 0
	global_store_b64 v[1:2], v[41:42], off
	v_lshlrev_b64_e32 v[1:2], 3, v[39:40]
	v_mad_co_u64_u32 v[31:32], null, s3, v38, v[5:6]
	v_lshlrev_b64_e32 v[16:17], 3, v[17:18]
	v_add_nc_u32_e32 v18, 0x90, v33
	s_delay_alu instid0(VALU_DEP_4) | instskip(SKIP_2) | instid1(VALU_DEP_4)
	v_add_co_u32 v1, vcc_lo, v46, v1
	s_wait_alu 0xfffd
	v_add_co_ci_u32_e32 v2, vcc_lo, v49, v2, vcc_lo
	v_add_co_u32 v16, vcc_lo, v46, v16
	s_wait_alu 0xfffd
	v_add_co_ci_u32_e32 v17, vcc_lo, v49, v17, vcc_lo
	global_store_b64 v[1:2], v[21:22], off
	v_lshlrev_b64_e32 v[1:2], 3, v[30:31]
	global_store_b64 v[16:17], v[23:24], off
	v_add_co_u32 v1, vcc_lo, v46, v1
	s_wait_alu 0xfffd
	v_add_co_ci_u32_e32 v2, vcc_lo, v49, v2, vcc_lo
	v_cmp_lt_u32_e32 vcc_lo, 0xfb, v0
	global_store_b64 v[1:2], v[3:4], off
	s_wait_alu 0xfffd
	v_cndmask_b32_e64 v4, 0, 0x90, vcc_lo
	s_delay_alu instid0(VALU_DEP_1) | instskip(NEXT) | instid1(VALU_DEP_1)
	v_add_nc_u32_e32 v23, v29, v4
	v_dual_mov_b32 v5, v27 :: v_dual_add_nc_u32 v24, 0x48, v23
	s_delay_alu instid0(VALU_DEP_1) | instskip(NEXT) | instid1(VALU_DEP_1)
	v_mad_co_u64_u32 v[27:28], null, s3, v33, v[5:6]
	v_lshlrev_b64_e32 v[16:17], 3, v[26:27]
	s_delay_alu instid0(VALU_DEP_1) | instskip(SKIP_1) | instid1(VALU_DEP_2)
	v_add_co_u32 v2, vcc_lo, v46, v16
	s_wait_alu 0xfffd
	v_add_co_ci_u32_e32 v3, vcc_lo, v49, v17, vcc_lo
	global_store_b64 v[2:3], v[12:13], off
	v_mad_co_u64_u32 v[12:13], null, s2, v24, 0
	v_add_nc_u32_e32 v5, 0x48, v33
	s_delay_alu instid0(VALU_DEP_1) | instskip(NEXT) | instid1(VALU_DEP_1)
	v_mad_co_u64_u32 v[21:22], null, s2, v5, 0
	v_mov_b32_e32 v1, v22
	s_delay_alu instid0(VALU_DEP_1) | instskip(SKIP_2) | instid1(VALU_DEP_3)
	v_mad_co_u64_u32 v[0:1], null, s3, v5, v[1:2]
	v_mad_co_u64_u32 v[4:5], null, s2, v18, 0
	;; [unrolled: 1-line block ×3, first 2 shown]
	v_mov_b32_e32 v22, v0
	s_delay_alu instid0(VALU_DEP_3) | instskip(NEXT) | instid1(VALU_DEP_3)
	v_mov_b32_e32 v0, v5
	v_mad_co_u64_u32 v[2:3], null, s3, v23, v[2:3]
	s_delay_alu instid0(VALU_DEP_3) | instskip(NEXT) | instid1(VALU_DEP_3)
	v_lshlrev_b64_e32 v[16:17], 3, v[21:22]
	v_mad_co_u64_u32 v[21:22], null, s3, v18, v[0:1]
	v_add_nc_u32_e32 v18, 0x90, v23
	v_mov_b32_e32 v0, v13
	s_delay_alu instid0(VALU_DEP_4) | instskip(NEXT) | instid1(VALU_DEP_3)
	v_add_co_u32 v16, vcc_lo, v46, v16
	v_mad_co_u64_u32 v[22:23], null, s2, v18, 0
	s_delay_alu instid0(VALU_DEP_3) | instskip(SKIP_3) | instid1(VALU_DEP_4)
	v_mad_co_u64_u32 v[24:25], null, s3, v24, v[0:1]
	v_lshlrev_b64_e32 v[1:2], 3, v[1:2]
	s_wait_alu 0xfffd
	v_add_co_ci_u32_e32 v17, vcc_lo, v49, v17, vcc_lo
	v_dual_mov_b32 v5, v21 :: v_dual_mov_b32 v0, v23
	global_store_b64 v[16:17], v[19:20], off
	v_mov_b32_e32 v13, v24
	v_lshlrev_b64_e32 v[3:4], 3, v[4:5]
	v_mad_co_u64_u32 v[16:17], null, s3, v18, v[0:1]
	s_delay_alu instid0(VALU_DEP_3) | instskip(NEXT) | instid1(VALU_DEP_3)
	v_lshlrev_b64_e32 v[12:13], 3, v[12:13]
	v_add_co_u32 v3, vcc_lo, v46, v3
	s_wait_alu 0xfffd
	s_delay_alu instid0(VALU_DEP_4) | instskip(NEXT) | instid1(VALU_DEP_4)
	v_add_co_ci_u32_e32 v4, vcc_lo, v49, v4, vcc_lo
	v_mov_b32_e32 v23, v16
	v_add_co_u32 v0, vcc_lo, v46, v1
	s_wait_alu 0xfffd
	v_add_co_ci_u32_e32 v1, vcc_lo, v49, v2, vcc_lo
	s_delay_alu instid0(VALU_DEP_3) | instskip(SKIP_3) | instid1(VALU_DEP_3)
	v_lshlrev_b64_e32 v[16:17], 3, v[22:23]
	v_add_co_u32 v12, vcc_lo, v46, v12
	s_wait_alu 0xfffd
	v_add_co_ci_u32_e32 v13, vcc_lo, v49, v13, vcc_lo
	v_add_co_u32 v16, vcc_lo, v46, v16
	s_wait_alu 0xfffd
	v_add_co_ci_u32_e32 v17, vcc_lo, v49, v17, vcc_lo
	s_clause 0x3
	global_store_b64 v[3:4], v[14:15], off
	global_store_b64 v[0:1], v[8:9], off
	;; [unrolled: 1-line block ×4, first 2 shown]
.LBB0_12:
	s_nop 0
	s_sendmsg sendmsg(MSG_DEALLOC_VGPRS)
	s_endpgm
	.section	.rodata,"a",@progbits
	.p2align	6, 0x0
	.amdhsa_kernel fft_rtc_back_len216_factors_6_4_3_3_wgs_252_tpt_18_dim2_sp_ip_CI_sbcc_twdbase8_2step_dirReg
		.amdhsa_group_segment_fixed_size 0
		.amdhsa_private_segment_fixed_size 0
		.amdhsa_kernarg_size 88
		.amdhsa_user_sgpr_count 2
		.amdhsa_user_sgpr_dispatch_ptr 0
		.amdhsa_user_sgpr_queue_ptr 0
		.amdhsa_user_sgpr_kernarg_segment_ptr 1
		.amdhsa_user_sgpr_dispatch_id 0
		.amdhsa_user_sgpr_private_segment_size 0
		.amdhsa_wavefront_size32 1
		.amdhsa_uses_dynamic_stack 0
		.amdhsa_enable_private_segment 0
		.amdhsa_system_sgpr_workgroup_id_x 1
		.amdhsa_system_sgpr_workgroup_id_y 0
		.amdhsa_system_sgpr_workgroup_id_z 0
		.amdhsa_system_sgpr_workgroup_info 0
		.amdhsa_system_vgpr_workitem_id 0
		.amdhsa_next_free_vgpr 100
		.amdhsa_next_free_sgpr 23
		.amdhsa_reserve_vcc 1
		.amdhsa_float_round_mode_32 0
		.amdhsa_float_round_mode_16_64 0
		.amdhsa_float_denorm_mode_32 3
		.amdhsa_float_denorm_mode_16_64 3
		.amdhsa_fp16_overflow 0
		.amdhsa_workgroup_processor_mode 1
		.amdhsa_memory_ordered 1
		.amdhsa_forward_progress 0
		.amdhsa_round_robin_scheduling 0
		.amdhsa_exception_fp_ieee_invalid_op 0
		.amdhsa_exception_fp_denorm_src 0
		.amdhsa_exception_fp_ieee_div_zero 0
		.amdhsa_exception_fp_ieee_overflow 0
		.amdhsa_exception_fp_ieee_underflow 0
		.amdhsa_exception_fp_ieee_inexact 0
		.amdhsa_exception_int_div_zero 0
	.end_amdhsa_kernel
	.text
.Lfunc_end0:
	.size	fft_rtc_back_len216_factors_6_4_3_3_wgs_252_tpt_18_dim2_sp_ip_CI_sbcc_twdbase8_2step_dirReg, .Lfunc_end0-fft_rtc_back_len216_factors_6_4_3_3_wgs_252_tpt_18_dim2_sp_ip_CI_sbcc_twdbase8_2step_dirReg
                                        ; -- End function
	.section	.AMDGPU.csdata,"",@progbits
; Kernel info:
; codeLenInByte = 8500
; NumSgprs: 25
; NumVgprs: 100
; ScratchSize: 0
; MemoryBound: 0
; FloatMode: 240
; IeeeMode: 1
; LDSByteSize: 0 bytes/workgroup (compile time only)
; SGPRBlocks: 3
; VGPRBlocks: 12
; NumSGPRsForWavesPerEU: 25
; NumVGPRsForWavesPerEU: 100
; Occupancy: 12
; WaveLimiterHint : 1
; COMPUTE_PGM_RSRC2:SCRATCH_EN: 0
; COMPUTE_PGM_RSRC2:USER_SGPR: 2
; COMPUTE_PGM_RSRC2:TRAP_HANDLER: 0
; COMPUTE_PGM_RSRC2:TGID_X_EN: 1
; COMPUTE_PGM_RSRC2:TGID_Y_EN: 0
; COMPUTE_PGM_RSRC2:TGID_Z_EN: 0
; COMPUTE_PGM_RSRC2:TIDIG_COMP_CNT: 0
	.text
	.p2alignl 7, 3214868480
	.fill 96, 4, 3214868480
	.type	__hip_cuid_ff06d9a40122160e,@object ; @__hip_cuid_ff06d9a40122160e
	.section	.bss,"aw",@nobits
	.globl	__hip_cuid_ff06d9a40122160e
__hip_cuid_ff06d9a40122160e:
	.byte	0                               ; 0x0
	.size	__hip_cuid_ff06d9a40122160e, 1

	.ident	"AMD clang version 19.0.0git (https://github.com/RadeonOpenCompute/llvm-project roc-6.4.0 25133 c7fe45cf4b819c5991fe208aaa96edf142730f1d)"
	.section	".note.GNU-stack","",@progbits
	.addrsig
	.addrsig_sym __hip_cuid_ff06d9a40122160e
	.amdgpu_metadata
---
amdhsa.kernels:
  - .args:
      - .actual_access:  read_only
        .address_space:  global
        .offset:         0
        .size:           8
        .value_kind:     global_buffer
      - .address_space:  global
        .offset:         8
        .size:           8
        .value_kind:     global_buffer
      - .actual_access:  read_only
        .address_space:  global
        .offset:         16
        .size:           8
        .value_kind:     global_buffer
      - .actual_access:  read_only
        .address_space:  global
        .offset:         24
        .size:           8
        .value_kind:     global_buffer
      - .offset:         32
        .size:           8
        .value_kind:     by_value
      - .actual_access:  read_only
        .address_space:  global
        .offset:         40
        .size:           8
        .value_kind:     global_buffer
      - .actual_access:  read_only
        .address_space:  global
        .offset:         48
        .size:           8
        .value_kind:     global_buffer
      - .offset:         56
        .size:           4
        .value_kind:     by_value
      - .actual_access:  read_only
        .address_space:  global
        .offset:         64
        .size:           8
        .value_kind:     global_buffer
      - .actual_access:  read_only
        .address_space:  global
        .offset:         72
        .size:           8
        .value_kind:     global_buffer
      - .address_space:  global
        .offset:         80
        .size:           8
        .value_kind:     global_buffer
    .group_segment_fixed_size: 0
    .kernarg_segment_align: 8
    .kernarg_segment_size: 88
    .language:       OpenCL C
    .language_version:
      - 2
      - 0
    .max_flat_workgroup_size: 252
    .name:           fft_rtc_back_len216_factors_6_4_3_3_wgs_252_tpt_18_dim2_sp_ip_CI_sbcc_twdbase8_2step_dirReg
    .private_segment_fixed_size: 0
    .sgpr_count:     25
    .sgpr_spill_count: 0
    .symbol:         fft_rtc_back_len216_factors_6_4_3_3_wgs_252_tpt_18_dim2_sp_ip_CI_sbcc_twdbase8_2step_dirReg.kd
    .uniform_work_group_size: 1
    .uses_dynamic_stack: false
    .vgpr_count:     100
    .vgpr_spill_count: 0
    .wavefront_size: 32
    .workgroup_processor_mode: 1
amdhsa.target:   amdgcn-amd-amdhsa--gfx1201
amdhsa.version:
  - 1
  - 2
...

	.end_amdgpu_metadata
